;; amdgpu-corpus repo=ROCm/rocFFT kind=compiled arch=gfx1100 opt=O3
	.text
	.amdgcn_target "amdgcn-amd-amdhsa--gfx1100"
	.amdhsa_code_object_version 6
	.protected	fft_rtc_fwd_len1320_factors_11_2_3_5_4_wgs_165_tpt_165_dp_op_CI_CI_unitstride_sbrr_R2C_dirReg ; -- Begin function fft_rtc_fwd_len1320_factors_11_2_3_5_4_wgs_165_tpt_165_dp_op_CI_CI_unitstride_sbrr_R2C_dirReg
	.globl	fft_rtc_fwd_len1320_factors_11_2_3_5_4_wgs_165_tpt_165_dp_op_CI_CI_unitstride_sbrr_R2C_dirReg
	.p2align	8
	.type	fft_rtc_fwd_len1320_factors_11_2_3_5_4_wgs_165_tpt_165_dp_op_CI_CI_unitstride_sbrr_R2C_dirReg,@function
fft_rtc_fwd_len1320_factors_11_2_3_5_4_wgs_165_tpt_165_dp_op_CI_CI_unitstride_sbrr_R2C_dirReg: ; @fft_rtc_fwd_len1320_factors_11_2_3_5_4_wgs_165_tpt_165_dp_op_CI_CI_unitstride_sbrr_R2C_dirReg
; %bb.0:
	s_clause 0x2
	s_load_b128 s[8:11], s[0:1], 0x0
	s_load_b128 s[4:7], s[0:1], 0x58
	;; [unrolled: 1-line block ×3, first 2 shown]
	v_mul_u32_u24_e32 v1, 0x18e, v0
	v_mov_b32_e32 v3, 0
	s_delay_alu instid0(VALU_DEP_2) | instskip(NEXT) | instid1(VALU_DEP_1)
	v_lshrrev_b32_e32 v1, 16, v1
	v_add_nc_u32_e32 v5, s15, v1
	v_mov_b32_e32 v1, 0
	v_mov_b32_e32 v2, 0
	;; [unrolled: 1-line block ×3, first 2 shown]
	s_waitcnt lgkmcnt(0)
	v_cmp_lt_u64_e64 s2, s[10:11], 2
	s_delay_alu instid0(VALU_DEP_1)
	s_and_b32 vcc_lo, exec_lo, s2
	s_cbranch_vccnz .LBB0_8
; %bb.1:
	s_load_b64 s[2:3], s[0:1], 0x10
	v_mov_b32_e32 v1, 0
	v_mov_b32_e32 v2, 0
	s_add_u32 s12, s18, 8
	s_addc_u32 s13, s19, 0
	s_add_u32 s14, s16, 8
	s_addc_u32 s15, s17, 0
	v_dual_mov_b32 v53, v2 :: v_dual_mov_b32 v52, v1
	s_mov_b64 s[22:23], 1
	s_waitcnt lgkmcnt(0)
	s_add_u32 s20, s2, 8
	s_addc_u32 s21, s3, 0
.LBB0_2:                                ; =>This Inner Loop Header: Depth=1
	s_load_b64 s[24:25], s[20:21], 0x0
                                        ; implicit-def: $vgpr54_vgpr55
	s_mov_b32 s2, exec_lo
	s_waitcnt lgkmcnt(0)
	v_or_b32_e32 v4, s25, v6
	s_delay_alu instid0(VALU_DEP_1)
	v_cmpx_ne_u64_e32 0, v[3:4]
	s_xor_b32 s3, exec_lo, s2
	s_cbranch_execz .LBB0_4
; %bb.3:                                ;   in Loop: Header=BB0_2 Depth=1
	v_cvt_f32_u32_e32 v4, s24
	v_cvt_f32_u32_e32 v7, s25
	s_sub_u32 s2, 0, s24
	s_subb_u32 s26, 0, s25
	s_delay_alu instid0(VALU_DEP_1) | instskip(NEXT) | instid1(VALU_DEP_1)
	v_fmac_f32_e32 v4, 0x4f800000, v7
	v_rcp_f32_e32 v4, v4
	s_waitcnt_depctr 0xfff
	v_mul_f32_e32 v4, 0x5f7ffffc, v4
	s_delay_alu instid0(VALU_DEP_1) | instskip(NEXT) | instid1(VALU_DEP_1)
	v_mul_f32_e32 v7, 0x2f800000, v4
	v_trunc_f32_e32 v7, v7
	s_delay_alu instid0(VALU_DEP_1) | instskip(SKIP_1) | instid1(VALU_DEP_2)
	v_fmac_f32_e32 v4, 0xcf800000, v7
	v_cvt_u32_f32_e32 v7, v7
	v_cvt_u32_f32_e32 v4, v4
	s_delay_alu instid0(VALU_DEP_2) | instskip(NEXT) | instid1(VALU_DEP_2)
	v_mul_lo_u32 v8, s2, v7
	v_mul_hi_u32 v9, s2, v4
	v_mul_lo_u32 v10, s26, v4
	s_delay_alu instid0(VALU_DEP_2) | instskip(SKIP_1) | instid1(VALU_DEP_2)
	v_add_nc_u32_e32 v8, v9, v8
	v_mul_lo_u32 v9, s2, v4
	v_add_nc_u32_e32 v8, v8, v10
	s_delay_alu instid0(VALU_DEP_2) | instskip(NEXT) | instid1(VALU_DEP_2)
	v_mul_hi_u32 v10, v4, v9
	v_mul_lo_u32 v11, v4, v8
	v_mul_hi_u32 v12, v4, v8
	v_mul_hi_u32 v13, v7, v9
	v_mul_lo_u32 v9, v7, v9
	v_mul_hi_u32 v14, v7, v8
	v_mul_lo_u32 v8, v7, v8
	v_add_co_u32 v10, vcc_lo, v10, v11
	v_add_co_ci_u32_e32 v11, vcc_lo, 0, v12, vcc_lo
	s_delay_alu instid0(VALU_DEP_2) | instskip(NEXT) | instid1(VALU_DEP_2)
	v_add_co_u32 v9, vcc_lo, v10, v9
	v_add_co_ci_u32_e32 v9, vcc_lo, v11, v13, vcc_lo
	v_add_co_ci_u32_e32 v10, vcc_lo, 0, v14, vcc_lo
	s_delay_alu instid0(VALU_DEP_2) | instskip(NEXT) | instid1(VALU_DEP_2)
	v_add_co_u32 v8, vcc_lo, v9, v8
	v_add_co_ci_u32_e32 v9, vcc_lo, 0, v10, vcc_lo
	s_delay_alu instid0(VALU_DEP_2) | instskip(NEXT) | instid1(VALU_DEP_2)
	v_add_co_u32 v4, vcc_lo, v4, v8
	v_add_co_ci_u32_e32 v7, vcc_lo, v7, v9, vcc_lo
	s_delay_alu instid0(VALU_DEP_2) | instskip(SKIP_1) | instid1(VALU_DEP_3)
	v_mul_hi_u32 v8, s2, v4
	v_mul_lo_u32 v10, s26, v4
	v_mul_lo_u32 v9, s2, v7
	s_delay_alu instid0(VALU_DEP_1) | instskip(SKIP_1) | instid1(VALU_DEP_2)
	v_add_nc_u32_e32 v8, v8, v9
	v_mul_lo_u32 v9, s2, v4
	v_add_nc_u32_e32 v8, v8, v10
	s_delay_alu instid0(VALU_DEP_2) | instskip(NEXT) | instid1(VALU_DEP_2)
	v_mul_hi_u32 v10, v4, v9
	v_mul_lo_u32 v11, v4, v8
	v_mul_hi_u32 v12, v4, v8
	v_mul_hi_u32 v13, v7, v9
	v_mul_lo_u32 v9, v7, v9
	v_mul_hi_u32 v14, v7, v8
	v_mul_lo_u32 v8, v7, v8
	v_add_co_u32 v10, vcc_lo, v10, v11
	v_add_co_ci_u32_e32 v11, vcc_lo, 0, v12, vcc_lo
	s_delay_alu instid0(VALU_DEP_2) | instskip(NEXT) | instid1(VALU_DEP_2)
	v_add_co_u32 v9, vcc_lo, v10, v9
	v_add_co_ci_u32_e32 v9, vcc_lo, v11, v13, vcc_lo
	v_add_co_ci_u32_e32 v10, vcc_lo, 0, v14, vcc_lo
	s_delay_alu instid0(VALU_DEP_2) | instskip(NEXT) | instid1(VALU_DEP_2)
	v_add_co_u32 v8, vcc_lo, v9, v8
	v_add_co_ci_u32_e32 v9, vcc_lo, 0, v10, vcc_lo
	s_delay_alu instid0(VALU_DEP_2) | instskip(NEXT) | instid1(VALU_DEP_2)
	v_add_co_u32 v4, vcc_lo, v4, v8
	v_add_co_ci_u32_e32 v13, vcc_lo, v7, v9, vcc_lo
	s_delay_alu instid0(VALU_DEP_2) | instskip(SKIP_1) | instid1(VALU_DEP_3)
	v_mul_hi_u32 v14, v5, v4
	v_mad_u64_u32 v[9:10], null, v6, v4, 0
	v_mad_u64_u32 v[7:8], null, v5, v13, 0
	;; [unrolled: 1-line block ×3, first 2 shown]
	s_delay_alu instid0(VALU_DEP_2) | instskip(NEXT) | instid1(VALU_DEP_3)
	v_add_co_u32 v4, vcc_lo, v14, v7
	v_add_co_ci_u32_e32 v7, vcc_lo, 0, v8, vcc_lo
	s_delay_alu instid0(VALU_DEP_2) | instskip(NEXT) | instid1(VALU_DEP_2)
	v_add_co_u32 v4, vcc_lo, v4, v9
	v_add_co_ci_u32_e32 v4, vcc_lo, v7, v10, vcc_lo
	v_add_co_ci_u32_e32 v7, vcc_lo, 0, v12, vcc_lo
	s_delay_alu instid0(VALU_DEP_2) | instskip(NEXT) | instid1(VALU_DEP_2)
	v_add_co_u32 v4, vcc_lo, v4, v11
	v_add_co_ci_u32_e32 v9, vcc_lo, 0, v7, vcc_lo
	s_delay_alu instid0(VALU_DEP_2) | instskip(SKIP_1) | instid1(VALU_DEP_3)
	v_mul_lo_u32 v10, s25, v4
	v_mad_u64_u32 v[7:8], null, s24, v4, 0
	v_mul_lo_u32 v11, s24, v9
	s_delay_alu instid0(VALU_DEP_2) | instskip(NEXT) | instid1(VALU_DEP_2)
	v_sub_co_u32 v7, vcc_lo, v5, v7
	v_add3_u32 v8, v8, v11, v10
	s_delay_alu instid0(VALU_DEP_1) | instskip(NEXT) | instid1(VALU_DEP_1)
	v_sub_nc_u32_e32 v10, v6, v8
	v_subrev_co_ci_u32_e64 v10, s2, s25, v10, vcc_lo
	v_add_co_u32 v11, s2, v4, 2
	s_delay_alu instid0(VALU_DEP_1) | instskip(SKIP_3) | instid1(VALU_DEP_3)
	v_add_co_ci_u32_e64 v12, s2, 0, v9, s2
	v_sub_co_u32 v13, s2, v7, s24
	v_sub_co_ci_u32_e32 v8, vcc_lo, v6, v8, vcc_lo
	v_subrev_co_ci_u32_e64 v10, s2, 0, v10, s2
	v_cmp_le_u32_e32 vcc_lo, s24, v13
	s_delay_alu instid0(VALU_DEP_3) | instskip(SKIP_1) | instid1(VALU_DEP_4)
	v_cmp_eq_u32_e64 s2, s25, v8
	v_cndmask_b32_e64 v13, 0, -1, vcc_lo
	v_cmp_le_u32_e32 vcc_lo, s25, v10
	v_cndmask_b32_e64 v14, 0, -1, vcc_lo
	v_cmp_le_u32_e32 vcc_lo, s24, v7
	;; [unrolled: 2-line block ×3, first 2 shown]
	v_cndmask_b32_e64 v15, 0, -1, vcc_lo
	v_cmp_eq_u32_e32 vcc_lo, s25, v10
	s_delay_alu instid0(VALU_DEP_2) | instskip(SKIP_3) | instid1(VALU_DEP_3)
	v_cndmask_b32_e64 v7, v15, v7, s2
	v_cndmask_b32_e32 v10, v14, v13, vcc_lo
	v_add_co_u32 v13, vcc_lo, v4, 1
	v_add_co_ci_u32_e32 v14, vcc_lo, 0, v9, vcc_lo
	v_cmp_ne_u32_e32 vcc_lo, 0, v10
	s_delay_alu instid0(VALU_DEP_2) | instskip(NEXT) | instid1(VALU_DEP_4)
	v_cndmask_b32_e32 v8, v14, v12, vcc_lo
	v_cndmask_b32_e32 v10, v13, v11, vcc_lo
	v_cmp_ne_u32_e32 vcc_lo, 0, v7
	s_delay_alu instid0(VALU_DEP_2)
	v_dual_cndmask_b32 v55, v9, v8 :: v_dual_cndmask_b32 v54, v4, v10
.LBB0_4:                                ;   in Loop: Header=BB0_2 Depth=1
	s_and_not1_saveexec_b32 s2, s3
	s_cbranch_execz .LBB0_6
; %bb.5:                                ;   in Loop: Header=BB0_2 Depth=1
	v_cvt_f32_u32_e32 v4, s24
	s_sub_i32 s3, 0, s24
	v_mov_b32_e32 v55, v3
	s_delay_alu instid0(VALU_DEP_2) | instskip(SKIP_2) | instid1(VALU_DEP_1)
	v_rcp_iflag_f32_e32 v4, v4
	s_waitcnt_depctr 0xfff
	v_mul_f32_e32 v4, 0x4f7ffffe, v4
	v_cvt_u32_f32_e32 v4, v4
	s_delay_alu instid0(VALU_DEP_1) | instskip(NEXT) | instid1(VALU_DEP_1)
	v_mul_lo_u32 v7, s3, v4
	v_mul_hi_u32 v7, v4, v7
	s_delay_alu instid0(VALU_DEP_1) | instskip(NEXT) | instid1(VALU_DEP_1)
	v_add_nc_u32_e32 v4, v4, v7
	v_mul_hi_u32 v4, v5, v4
	s_delay_alu instid0(VALU_DEP_1) | instskip(SKIP_1) | instid1(VALU_DEP_2)
	v_mul_lo_u32 v7, v4, s24
	v_add_nc_u32_e32 v8, 1, v4
	v_sub_nc_u32_e32 v7, v5, v7
	s_delay_alu instid0(VALU_DEP_1) | instskip(SKIP_1) | instid1(VALU_DEP_2)
	v_subrev_nc_u32_e32 v9, s24, v7
	v_cmp_le_u32_e32 vcc_lo, s24, v7
	v_dual_cndmask_b32 v7, v7, v9 :: v_dual_cndmask_b32 v4, v4, v8
	s_delay_alu instid0(VALU_DEP_1) | instskip(NEXT) | instid1(VALU_DEP_2)
	v_cmp_le_u32_e32 vcc_lo, s24, v7
	v_add_nc_u32_e32 v8, 1, v4
	s_delay_alu instid0(VALU_DEP_1)
	v_cndmask_b32_e32 v54, v4, v8, vcc_lo
.LBB0_6:                                ;   in Loop: Header=BB0_2 Depth=1
	s_or_b32 exec_lo, exec_lo, s2
	s_delay_alu instid0(VALU_DEP_1) | instskip(NEXT) | instid1(VALU_DEP_2)
	v_mul_lo_u32 v4, v55, s24
	v_mul_lo_u32 v9, v54, s25
	s_load_b64 s[2:3], s[14:15], 0x0
	v_mad_u64_u32 v[7:8], null, v54, s24, 0
	s_load_b64 s[24:25], s[12:13], 0x0
	s_add_u32 s22, s22, 1
	s_addc_u32 s23, s23, 0
	s_add_u32 s12, s12, 8
	s_addc_u32 s13, s13, 0
	s_add_u32 s14, s14, 8
	s_delay_alu instid0(VALU_DEP_1) | instskip(SKIP_3) | instid1(VALU_DEP_2)
	v_add3_u32 v4, v8, v9, v4
	v_sub_co_u32 v8, vcc_lo, v5, v7
	s_addc_u32 s15, s15, 0
	s_add_u32 s20, s20, 8
	v_sub_co_ci_u32_e32 v6, vcc_lo, v6, v4, vcc_lo
	s_addc_u32 s21, s21, 0
	s_waitcnt lgkmcnt(0)
	s_delay_alu instid0(VALU_DEP_1)
	v_mul_lo_u32 v9, s2, v6
	v_mul_lo_u32 v10, s3, v8
	v_mad_u64_u32 v[4:5], null, s2, v8, v[1:2]
	v_mul_lo_u32 v11, s24, v6
	v_mul_lo_u32 v12, s25, v8
	v_mad_u64_u32 v[6:7], null, s24, v8, v[52:53]
	v_cmp_ge_u64_e64 s2, s[22:23], s[10:11]
	v_add3_u32 v2, v10, v5, v9
	s_delay_alu instid0(VALU_DEP_3) | instskip(NEXT) | instid1(VALU_DEP_4)
	v_dual_mov_b32 v1, v4 :: v_dual_mov_b32 v52, v6
	v_add3_u32 v53, v12, v7, v11
	s_delay_alu instid0(VALU_DEP_4)
	s_and_b32 vcc_lo, exec_lo, s2
	s_cbranch_vccnz .LBB0_9
; %bb.7:                                ;   in Loop: Header=BB0_2 Depth=1
	v_dual_mov_b32 v5, v54 :: v_dual_mov_b32 v6, v55
	s_branch .LBB0_2
.LBB0_8:
	v_dual_mov_b32 v53, v2 :: v_dual_mov_b32 v52, v1
	v_dual_mov_b32 v55, v6 :: v_dual_mov_b32 v54, v5
.LBB0_9:
	s_load_b64 s[0:1], s[0:1], 0x28
	v_mul_hi_u32 v3, 0x18d3019, v0
	s_lshl_b64 s[10:11], s[10:11], 3
                                        ; implicit-def: $vgpr56
	s_delay_alu instid0(SALU_CYCLE_1) | instskip(SKIP_4) | instid1(VALU_DEP_1)
	s_add_u32 s2, s18, s10
	s_addc_u32 s3, s19, s11
	s_waitcnt lgkmcnt(0)
	v_cmp_gt_u64_e32 vcc_lo, s[0:1], v[54:55]
	v_cmp_le_u64_e64 s0, s[0:1], v[54:55]
	s_and_saveexec_b32 s1, s0
	s_delay_alu instid0(SALU_CYCLE_1)
	s_xor_b32 s0, exec_lo, s1
; %bb.10:
	v_mul_u32_u24_e32 v1, 0xa5, v3
                                        ; implicit-def: $vgpr3
	s_delay_alu instid0(VALU_DEP_1)
	v_sub_nc_u32_e32 v56, v0, v1
                                        ; implicit-def: $vgpr0
                                        ; implicit-def: $vgpr1_vgpr2
; %bb.11:
	s_and_not1_saveexec_b32 s1, s0
	s_cbranch_execz .LBB0_13
; %bb.12:
	s_add_u32 s10, s16, s10
	s_addc_u32 s11, s17, s11
	v_lshlrev_b64 v[1:2], 4, v[1:2]
	s_load_b64 s[10:11], s[10:11], 0x0
	s_waitcnt lgkmcnt(0)
	v_mul_lo_u32 v6, s11, v54
	v_mul_lo_u32 v7, s10, v55
	v_mad_u64_u32 v[4:5], null, s10, v54, 0
	s_delay_alu instid0(VALU_DEP_1) | instskip(SKIP_1) | instid1(VALU_DEP_2)
	v_add3_u32 v5, v5, v7, v6
	v_mul_u32_u24_e32 v6, 0xa5, v3
	v_lshlrev_b64 v[3:4], 4, v[4:5]
	s_delay_alu instid0(VALU_DEP_2) | instskip(NEXT) | instid1(VALU_DEP_1)
	v_sub_nc_u32_e32 v56, v0, v6
	v_lshlrev_b32_e32 v32, 4, v56
	s_delay_alu instid0(VALU_DEP_3) | instskip(NEXT) | instid1(VALU_DEP_1)
	v_add_co_u32 v0, s0, s4, v3
	v_add_co_ci_u32_e64 v3, s0, s5, v4, s0
	s_delay_alu instid0(VALU_DEP_2) | instskip(NEXT) | instid1(VALU_DEP_1)
	v_add_co_u32 v0, s0, v0, v1
	v_add_co_ci_u32_e64 v1, s0, v3, v2, s0
	s_delay_alu instid0(VALU_DEP_2) | instskip(NEXT) | instid1(VALU_DEP_1)
	v_add_co_u32 v8, s0, v0, v32
	v_add_co_ci_u32_e64 v9, s0, 0, v1, s0
	s_clause 0x1
	global_load_b128 v[0:3], v[8:9], off
	global_load_b128 v[4:7], v[8:9], off offset:2640
	v_add_co_u32 v12, s0, 0x1000, v8
	s_delay_alu instid0(VALU_DEP_1) | instskip(SKIP_1) | instid1(VALU_DEP_1)
	v_add_co_ci_u32_e64 v13, s0, 0, v9, s0
	v_add_co_u32 v16, s0, 0x2000, v8
	v_add_co_ci_u32_e64 v17, s0, 0, v9, s0
	v_add_co_u32 v24, s0, 0x3000, v8
	s_delay_alu instid0(VALU_DEP_1) | instskip(SKIP_1) | instid1(VALU_DEP_1)
	v_add_co_ci_u32_e64 v25, s0, 0, v9, s0
	v_add_co_u32 v28, s0, 0x4000, v8
	v_add_co_ci_u32_e64 v29, s0, 0, v9, s0
	s_clause 0x5
	global_load_b128 v[8:11], v[12:13], off offset:1184
	global_load_b128 v[12:15], v[12:13], off offset:3824
	;; [unrolled: 1-line block ×6, first 2 shown]
	v_add_nc_u32_e32 v32, 0, v32
	s_waitcnt vmcnt(7)
	ds_store_b128 v32, v[0:3]
	s_waitcnt vmcnt(6)
	ds_store_b128 v32, v[4:7] offset:2640
	s_waitcnt vmcnt(5)
	ds_store_b128 v32, v[8:11] offset:5280
	;; [unrolled: 2-line block ×7, first 2 shown]
.LBB0_13:
	s_or_b32 exec_lo, exec_lo, s1
	s_delay_alu instid0(VALU_DEP_1)
	v_lshl_add_u32 v137, v56, 4, 0
	s_waitcnt lgkmcnt(0)
	s_barrier
	buffer_gl0_inv
	s_mov_b32 s4, 0x8eee2c13
	ds_load_b128 v[8:11], v137 offset:19200
	ds_load_b128 v[32:35], v137 offset:1920
	ds_load_b128 v[20:23], v137
	ds_load_b128 v[12:15], v137 offset:17280
	ds_load_b128 v[40:43], v137 offset:3840
	s_mov_b32 s10, 0x43842ef
	s_mov_b32 s5, 0xbfed1bb4
	;; [unrolled: 1-line block ×3, first 2 shown]
	ds_load_b128 v[48:51], v137 offset:5760
	ds_load_b128 v[16:19], v137 offset:15360
	s_mov_b32 s14, 0xd9c712b6
	s_mov_b32 s22, 0xbb3a28a1
	;; [unrolled: 1-line block ×8, first 2 shown]
	ds_load_b128 v[24:27], v137 offset:13440
	ds_load_b128 v[44:47], v137 offset:7680
	s_mov_b32 s24, 0x7f775887
	s_mov_b32 s18, 0x9bcd5057
	;; [unrolled: 1-line block ×4, first 2 shown]
	s_waitcnt lgkmcnt(7)
	v_add_f64 v[107:108], v[34:35], -v[10:11]
	v_add_f64 v[85:86], v[32:33], -v[8:9]
	s_waitcnt lgkmcnt(4)
	v_add_f64 v[93:94], v[42:43], -v[14:15]
	v_add_f64 v[73:74], v[40:41], -v[12:13]
	v_add_f64 v[95:96], v[32:33], v[8:9]
	v_add_f64 v[133:134], v[34:35], v[10:11]
	s_waitcnt lgkmcnt(2)
	v_add_f64 v[113:114], v[50:51], -v[18:19]
	v_add_f64 v[103:104], v[48:49], -v[16:17]
	v_add_f64 v[91:92], v[40:41], v[12:13]
	v_add_f64 v[119:120], v[42:43], v[14:15]
	s_mov_b32 s21, 0x3fed1bb4
	s_mov_b32 s20, s4
	v_add_f64 v[97:98], v[48:49], v[16:17]
	v_add_f64 v[135:136], v[50:51], v[18:19]
	ds_load_b128 v[36:39], v137 offset:9600
	ds_load_b128 v[28:31], v137 offset:11520
	s_waitcnt lgkmcnt(2)
	v_add_f64 v[87:88], v[46:47], -v[26:27]
	v_add_f64 v[61:62], v[44:45], -v[24:25]
	s_mov_b32 s30, 0xf8bb580b
	s_mov_b32 s27, 0x3fefac9e
	;; [unrolled: 1-line block ×4, first 2 shown]
	v_add_f64 v[69:70], v[44:45], v[24:25]
	v_add_f64 v[99:100], v[46:47], v[26:27]
	s_mov_b32 s28, 0x8764f0ba
	s_mov_b32 s29, 0x3feaeb8c
	;; [unrolled: 1-line block ×4, first 2 shown]
	s_mov_b32 s33, exec_lo
	s_waitcnt lgkmcnt(0)
	s_barrier
	buffer_gl0_inv
	v_add_f64 v[79:80], v[38:39], -v[30:31]
	v_add_f64 v[57:58], v[36:37], -v[28:29]
	v_add_f64 v[89:90], v[38:39], v[30:31]
	v_mul_f64 v[101:102], v[107:108], s[4:5]
	v_mul_f64 v[105:106], v[85:86], s[4:5]
	;; [unrolled: 1-line block ×17, first 2 shown]
	v_fma_f64 v[0:1], v[95:96], s[14:15], v[101:102]
	v_fma_f64 v[2:3], v[133:134], s[14:15], -v[105:106]
	v_fma_f64 v[4:5], v[95:96], s[16:17], v[117:118]
	v_fma_f64 v[6:7], v[133:134], s[16:17], -v[129:130]
	;; [unrolled: 2-line block ×8, first 2 shown]
	v_add_f64 v[0:1], v[20:21], v[0:1]
	v_add_f64 v[2:3], v[22:23], v[2:3]
	;; [unrolled: 1-line block ×4, first 2 shown]
	s_delay_alu instid0(VALU_DEP_4) | instskip(NEXT) | instid1(VALU_DEP_4)
	v_add_f64 v[0:1], v[59:60], v[0:1]
	v_add_f64 v[2:3], v[63:64], v[2:3]
	s_delay_alu instid0(VALU_DEP_4) | instskip(NEXT) | instid1(VALU_DEP_4)
	v_add_f64 v[4:5], v[65:66], v[4:5]
	v_add_f64 v[6:7], v[67:68], v[6:7]
	;; [unrolled: 1-line block ×3, first 2 shown]
	v_mul_f64 v[63:64], v[79:80], s[34:35]
	v_mul_f64 v[65:66], v[57:58], s[34:35]
	;; [unrolled: 1-line block ×3, first 2 shown]
	v_add_f64 v[0:1], v[138:139], v[0:1]
	v_add_f64 v[2:3], v[140:141], v[2:3]
	v_add_f64 v[4:5], v[142:143], v[4:5]
	v_add_f64 v[6:7], v[144:145], v[6:7]
	v_fma_f64 v[144:145], v[89:90], s[24:25], -v[71:72]
	v_fma_f64 v[138:139], v[59:60], s[28:29], v[63:64]
	v_fma_f64 v[140:141], v[89:90], s[28:29], -v[65:66]
	v_fma_f64 v[142:143], v[59:60], s[24:25], v[67:68]
	v_add_f64 v[0:1], v[146:147], v[0:1]
	v_add_f64 v[2:3], v[148:149], v[2:3]
	;; [unrolled: 1-line block ×4, first 2 shown]
	s_delay_alu instid0(VALU_DEP_4) | instskip(NEXT) | instid1(VALU_DEP_4)
	v_add_f64 v[0:1], v[138:139], v[0:1]
	v_add_f64 v[2:3], v[140:141], v[2:3]
	s_delay_alu instid0(VALU_DEP_4) | instskip(NEXT) | instid1(VALU_DEP_4)
	v_add_f64 v[4:5], v[142:143], v[4:5]
	v_add_f64 v[6:7], v[144:145], v[6:7]
	v_cmpx_gt_u32_e32 0x78, v56
	s_cbranch_execz .LBB0_15
; %bb.14:
	v_add_f64 v[34:35], v[22:23], v[34:35]
	v_add_f64 v[32:33], v[20:21], v[32:33]
	v_mul_f64 v[138:139], v[133:134], s[24:25]
	v_mul_f64 v[140:141], v[95:96], s[14:15]
	s_mov_b32 s1, 0xbfd207e7
	s_mov_b32 s0, s12
	v_mul_f64 v[142:143], v[107:108], s[22:23]
	v_mul_f64 v[146:147], v[107:108], s[30:31]
	;; [unrolled: 1-line block ×5, first 2 shown]
	s_mov_b32 s37, 0x3fe82f19
	s_mov_b32 s36, s22
	v_mul_f64 v[144:145], v[135:136], s[14:15]
	v_mul_f64 v[154:155], v[135:136], s[18:19]
	;; [unrolled: 1-line block ×8, first 2 shown]
	v_add_f64 v[34:35], v[34:35], v[42:43]
	v_add_f64 v[32:33], v[32:33], v[40:41]
	v_mul_f64 v[42:43], v[95:96], s[16:17]
	v_mul_f64 v[40:41], v[133:134], s[16:17]
	v_add_f64 v[101:102], v[140:141], -v[101:102]
	v_add_f64 v[127:128], v[150:151], -v[127:128]
	v_fma_f64 v[150:151], v[95:96], s[28:29], v[146:147]
	v_fma_f64 v[146:147], v[95:96], s[28:29], -v[146:147]
	v_add_f64 v[115:116], v[152:153], -v[115:116]
	v_fma_f64 v[152:153], v[95:96], s[18:19], v[107:108]
	v_add_f64 v[131:132], v[131:132], v[144:145]
	v_mul_f64 v[144:145], v[113:114], s[22:23]
	v_add_f64 v[111:112], v[111:112], v[156:157]
	v_add_f64 v[125:126], v[125:126], v[154:155]
	v_add_f64 v[123:124], v[160:161], -v[123:124]
	v_add_f64 v[109:110], v[162:163], -v[109:110]
	v_fma_f64 v[154:155], v[103:104], s[34:35], v[164:165]
	v_add_f64 v[121:122], v[121:122], v[148:149]
	v_mul_f64 v[148:149], v[113:114], s[30:31]
	v_mul_f64 v[113:114], v[113:114], s[10:11]
	v_fma_f64 v[156:157], v[103:104], s[30:31], v[164:165]
	v_add_f64 v[34:35], v[34:35], v[50:51]
	v_add_f64 v[32:33], v[32:33], v[48:49]
	v_mul_f64 v[48:49], v[133:134], s[18:19]
	v_mul_f64 v[50:51], v[133:134], s[14:15]
	;; [unrolled: 1-line block ×3, first 2 shown]
	v_add_f64 v[42:43], v[42:43], -v[117:118]
	v_add_f64 v[40:41], v[129:130], v[40:41]
	v_mul_f64 v[129:130], v[93:94], s[26:27]
	v_add_f64 v[101:102], v[20:21], v[101:102]
	v_add_f64 v[150:151], v[20:21], v[150:151]
	;; [unrolled: 1-line block ×4, first 2 shown]
	v_mul_f64 v[44:45], v[135:136], s[16:17]
	v_mul_f64 v[46:47], v[119:120], s[28:29]
	v_mul_f64 v[135:136], v[119:120], s[16:17]
	v_fma_f64 v[117:118], v[85:86], s[12:13], v[48:49]
	v_add_f64 v[50:51], v[105:106], v[50:51]
	v_fma_f64 v[105:106], v[85:86], s[36:37], v[138:139]
	v_fma_f64 v[48:49], v[85:86], s[0:1], v[48:49]
	;; [unrolled: 1-line block ×6, first 2 shown]
	v_fma_f64 v[142:143], v[95:96], s[24:25], -v[142:143]
	v_fma_f64 v[95:96], v[95:96], s[18:19], -v[107:108]
	v_mul_f64 v[107:108], v[93:94], s[34:35]
	v_mul_f64 v[119:120], v[119:120], s[14:15]
	;; [unrolled: 1-line block ×3, first 2 shown]
	v_add_f64 v[40:41], v[22:23], v[40:41]
	v_add_f64 v[42:43], v[20:21], v[42:43]
	v_fma_f64 v[164:165], v[91:92], s[16:17], v[129:130]
	v_fma_f64 v[129:130], v[91:92], s[16:17], -v[129:130]
	v_add_f64 v[101:102], v[109:110], v[101:102]
	v_mul_f64 v[109:110], v[89:90], s[14:15]
	v_add_f64 v[34:35], v[34:35], v[38:39]
	v_add_f64 v[32:33], v[32:33], v[36:37]
	v_fma_f64 v[36:37], v[103:104], s[36:37], v[158:159]
	v_fma_f64 v[160:161], v[73:74], s[30:31], v[46:47]
	;; [unrolled: 1-line block ×3, first 2 shown]
	v_add_f64 v[117:118], v[22:23], v[117:118]
	v_add_f64 v[50:51], v[22:23], v[50:51]
	v_add_f64 v[105:106], v[22:23], v[105:106]
	v_fma_f64 v[46:47], v[73:74], s[34:35], v[46:47]
	v_add_f64 v[48:49], v[22:23], v[48:49]
	v_fma_f64 v[38:39], v[103:104], s[22:23], v[158:159]
	v_fma_f64 v[158:159], v[103:104], s[26:27], v[44:45]
	v_add_f64 v[133:134], v[20:21], v[133:134]
	v_fma_f64 v[44:45], v[103:104], s[10:11], v[44:45]
	v_fma_f64 v[103:104], v[73:74], s[26:27], v[135:136]
	v_add_f64 v[138:139], v[22:23], v[138:139]
	v_add_f64 v[142:143], v[20:21], v[142:143]
	;; [unrolled: 1-line block ×7, first 2 shown]
	v_fma_f64 v[152:153], v[91:92], s[28:29], -v[107:108]
	v_fma_f64 v[135:136], v[73:74], s[20:21], v[119:120]
	v_fma_f64 v[73:74], v[73:74], s[4:5], v[119:120]
	v_mul_f64 v[119:120], v[69:70], s[28:29]
	v_fma_f64 v[95:96], v[97:98], s[24:25], v[144:145]
	v_fma_f64 v[144:145], v[97:98], s[24:25], -v[144:145]
	v_add_f64 v[40:41], v[121:122], v[40:41]
	v_add_f64 v[42:43], v[115:116], v[42:43]
	v_mul_f64 v[121:122], v[89:90], s[28:29]
	v_add_f64 v[101:102], v[123:124], v[101:102]
	v_mul_f64 v[115:116], v[89:90], s[16:17]
	v_add_f64 v[30:31], v[34:35], v[30:31]
	v_fma_f64 v[34:35], v[91:92], s[28:29], v[107:108]
	v_add_f64 v[28:29], v[32:33], v[28:29]
	v_fma_f64 v[32:33], v[91:92], s[14:15], -v[93:94]
	v_fma_f64 v[91:92], v[91:92], s[14:15], v[93:94]
	v_add_f64 v[117:118], v[160:161], v[117:118]
	v_mul_f64 v[160:161], v[99:100], s[16:17]
	v_add_f64 v[105:106], v[162:163], v[105:106]
	v_mul_f64 v[162:163], v[69:70], s[16:17]
	v_add_f64 v[50:51], v[111:112], v[50:51]
	v_fma_f64 v[107:108], v[97:98], s[28:29], v[148:149]
	v_fma_f64 v[148:149], v[97:98], s[28:29], -v[148:149]
	v_fma_f64 v[93:94], v[97:98], s[16:17], v[113:114]
	v_fma_f64 v[97:98], v[97:98], s[16:17], -v[113:114]
	v_mul_f64 v[113:114], v[99:100], s[28:29]
	v_add_f64 v[46:47], v[46:47], v[48:49]
	v_mul_f64 v[48:49], v[99:100], s[14:15]
	v_add_f64 v[133:134], v[164:165], v[133:134]
	v_mul_f64 v[164:165], v[99:100], s[18:19]
	v_mul_f64 v[99:100], v[99:100], s[24:25]
	v_add_f64 v[103:104], v[103:104], v[138:139]
	v_mul_f64 v[138:139], v[87:88], s[20:21]
	v_add_f64 v[129:130], v[129:130], v[142:143]
	v_mul_f64 v[142:143], v[87:88], s[22:23]
	v_mul_f64 v[87:88], v[87:88], s[0:1]
	v_add_f64 v[20:21], v[152:153], v[20:21]
	v_add_f64 v[22:23], v[73:74], v[22:23]
	;; [unrolled: 1-line block ×3, first 2 shown]
	v_mul_f64 v[73:74], v[89:90], s[24:25]
	v_add_f64 v[81:82], v[119:120], -v[81:82]
	v_add_f64 v[40:41], v[131:132], v[40:41]
	v_add_f64 v[42:43], v[127:128], v[42:43]
	v_mul_f64 v[111:112], v[79:80], s[10:11]
	v_mul_f64 v[140:141], v[79:80], s[20:21]
	;; [unrolled: 1-line block ×4, first 2 shown]
	v_add_f64 v[65:66], v[65:66], v[121:122]
	v_add_f64 v[26:27], v[30:31], v[26:27]
	;; [unrolled: 1-line block ×6, first 2 shown]
	v_mul_f64 v[85:86], v[59:60], s[28:29]
	v_add_f64 v[77:78], v[77:78], v[160:161]
	v_mul_f64 v[30:31], v[59:60], s[24:25]
	v_add_f64 v[75:76], v[162:163], -v[75:76]
	v_add_f64 v[50:51], v[125:126], v[50:51]
	v_add_f64 v[36:37], v[36:37], v[117:118]
	;; [unrolled: 1-line block ×4, first 2 shown]
	v_fma_f64 v[91:92], v[61:62], s[4:5], v[48:49]
	v_fma_f64 v[48:49], v[61:62], s[20:21], v[48:49]
	;; [unrolled: 1-line block ×7, first 2 shown]
	v_fma_f64 v[138:139], v[69:70], s[14:15], -v[138:139]
	v_fma_f64 v[150:151], v[69:70], s[24:25], v[142:143]
	v_fma_f64 v[142:143], v[69:70], s[24:25], -v[142:143]
	v_fma_f64 v[152:153], v[69:70], s[18:19], v[87:88]
	v_fma_f64 v[69:70], v[69:70], s[18:19], -v[87:88]
	v_add_f64 v[46:47], v[154:155], v[105:106]
	v_add_f64 v[103:104], v[156:157], v[103:104]
	;; [unrolled: 1-line block ×9, first 2 shown]
	v_fma_f64 v[44:45], v[59:60], s[16:17], v[111:112]
	v_add_f64 v[18:19], v[26:27], v[18:19]
	v_add_f64 v[34:35], v[95:96], v[34:35]
	;; [unrolled: 1-line block ×5, first 2 shown]
	v_add_f64 v[63:64], v[85:86], -v[63:64]
	v_fma_f64 v[26:27], v[57:58], s[26:27], v[115:116]
	v_fma_f64 v[28:29], v[57:58], s[10:11], v[115:116]
	v_add_f64 v[75:76], v[75:76], v[101:102]
	v_add_f64 v[50:51], v[77:78], v[50:51]
	v_add_f64 v[67:68], v[30:31], -v[67:68]
	v_fma_f64 v[93:94], v[59:60], s[16:17], -v[111:112]
	v_fma_f64 v[95:96], v[57:58], s[4:5], v[109:110]
	v_fma_f64 v[109:110], v[57:58], s[20:21], v[109:110]
	v_add_f64 v[40:41], v[83:84], v[40:41]
	v_fma_f64 v[111:112], v[59:60], s[14:15], -v[140:141]
	v_add_f64 v[30:31], v[91:92], v[36:37]
	v_add_f64 v[36:37], v[48:49], v[38:39]
	v_fma_f64 v[97:98], v[59:60], s[14:15], v[140:141]
	v_fma_f64 v[85:86], v[59:60], s[18:19], v[79:80]
	v_fma_f64 v[59:60], v[59:60], s[18:19], -v[79:80]
	v_fma_f64 v[73:74], v[57:58], s[12:13], v[89:90]
	v_fma_f64 v[57:58], v[57:58], s[0:1], v[89:90]
	v_add_f64 v[38:39], v[113:114], v[46:47]
	v_add_f64 v[48:49], v[119:120], v[103:104]
	;; [unrolled: 1-line block ×30, first 2 shown]
	v_mad_u32_u24 v44, 0xa0, v56, v137
	ds_store_b128 v44, v[4:7] offset:128
	ds_store_b128 v44, v[0:3] offset:144
	;; [unrolled: 1-line block ×9, first 2 shown]
	ds_store_b128 v44, v[8:11]
	ds_store_b128 v44, v[36:39] offset:160
.LBB0_15:
	s_or_b32 exec_lo, exec_lo, s33
	v_and_b32_e32 v42, 0xff, v56
	v_add_nc_u32_e32 v40, 0xa5, v56
	v_add_nc_u32_e32 v43, 0x14a, v56
	;; [unrolled: 1-line block ×3, first 2 shown]
	s_load_b64 s[2:3], s[2:3], 0x0
	v_mul_lo_u16 v8, 0x75, v42
	v_and_b32_e32 v41, 0xffff, v40
	v_and_b32_e32 v11, 0xffff, v43
	s_waitcnt lgkmcnt(0)
	s_barrier
	v_lshrrev_b16 v8, 8, v8
	v_mul_u32_u24_e32 v45, 0xba2f, v41
	v_mul_u32_u24_e32 v44, 0xba2f, v11
	buffer_gl0_inv
	v_cmp_gt_u32_e64 s0, 0x6e, v56
	v_sub_nc_u16 v9, v56, v8
	v_lshrrev_b32_e32 v66, 19, v45
	v_lshrrev_b32_e32 v67, 19, v44
	s_delay_alu instid0(VALU_DEP_3) | instskip(NEXT) | instid1(VALU_DEP_2)
	v_lshrrev_b16 v9, 1, v9
	v_mul_lo_u16 v11, v67, 11
	s_delay_alu instid0(VALU_DEP_2) | instskip(NEXT) | instid1(VALU_DEP_2)
	v_and_b32_e32 v9, 0x7f, v9
	v_sub_nc_u16 v11, v43, v11
	s_delay_alu instid0(VALU_DEP_2) | instskip(SKIP_1) | instid1(VALU_DEP_3)
	v_add_nc_u16 v8, v9, v8
	v_and_b32_e32 v9, 0xffff, v10
	v_and_b32_e32 v11, 0xffff, v11
	s_delay_alu instid0(VALU_DEP_3) | instskip(NEXT) | instid1(VALU_DEP_3)
	v_lshrrev_b16 v65, 3, v8
	v_mul_u32_u24_e32 v8, 0xba2f, v9
	s_delay_alu instid0(VALU_DEP_3) | instskip(NEXT) | instid1(VALU_DEP_3)
	v_lshlrev_b32_e32 v71, 4, v11
	v_mul_lo_u16 v9, v65, 11
	s_delay_alu instid0(VALU_DEP_3) | instskip(SKIP_1) | instid1(VALU_DEP_3)
	v_lshrrev_b32_e32 v68, 19, v8
	v_mul_lo_u16 v8, v66, 11
	v_sub_nc_u16 v9, v56, v9
	s_delay_alu instid0(VALU_DEP_3) | instskip(NEXT) | instid1(VALU_DEP_3)
	v_mul_lo_u16 v12, v68, 11
	v_sub_nc_u16 v8, v40, v8
	s_delay_alu instid0(VALU_DEP_3) | instskip(NEXT) | instid1(VALU_DEP_3)
	v_and_b32_e32 v9, 0xff, v9
	v_sub_nc_u16 v10, v10, v12
	s_delay_alu instid0(VALU_DEP_3) | instskip(NEXT) | instid1(VALU_DEP_3)
	v_and_b32_e32 v8, 0xffff, v8
	v_lshlrev_b32_e32 v69, 4, v9
	s_delay_alu instid0(VALU_DEP_3) | instskip(NEXT) | instid1(VALU_DEP_3)
	v_and_b32_e32 v12, 0xffff, v10
	v_lshlrev_b32_e32 v70, 4, v8
	global_load_b128 v[8:11], v69, s[8:9]
	v_lshlrev_b32_e32 v72, 4, v12
	s_clause 0x2
	global_load_b128 v[12:15], v70, s[8:9]
	global_load_b128 v[16:19], v71, s[8:9]
	;; [unrolled: 1-line block ×3, first 2 shown]
	ds_load_b128 v[24:27], v137 offset:10560
	ds_load_b128 v[28:31], v137 offset:13200
	;; [unrolled: 1-line block ×4, first 2 shown]
	s_waitcnt vmcnt(3) lgkmcnt(3)
	v_mul_f64 v[46:47], v[26:27], v[10:11]
	v_mul_f64 v[10:11], v[24:25], v[10:11]
	s_waitcnt vmcnt(2) lgkmcnt(2)
	v_mul_f64 v[48:49], v[30:31], v[14:15]
	v_mul_f64 v[14:15], v[28:29], v[14:15]
	;; [unrolled: 3-line block ×4, first 2 shown]
	v_fma_f64 v[46:47], v[24:25], v[8:9], -v[46:47]
	v_fma_f64 v[59:60], v[26:27], v[8:9], v[10:11]
	v_fma_f64 v[48:49], v[28:29], v[12:13], -v[48:49]
	v_fma_f64 v[61:62], v[30:31], v[12:13], v[14:15]
	;; [unrolled: 2-line block ×4, first 2 shown]
	ds_load_b128 v[8:11], v137
	ds_load_b128 v[12:15], v137 offset:2640
	ds_load_b128 v[16:19], v137 offset:5280
	ds_load_b128 v[24:27], v137 offset:7920
	s_waitcnt lgkmcnt(0)
	s_barrier
	buffer_gl0_inv
	v_add_f64 v[28:29], v[8:9], -v[46:47]
	v_add_f64 v[30:31], v[10:11], -v[59:60]
	;; [unrolled: 1-line block ×8, first 2 shown]
	v_fma_f64 v[46:47], v[8:9], 2.0, -v[28:29]
	v_fma_f64 v[48:49], v[10:11], 2.0, -v[30:31]
	;; [unrolled: 1-line block ×8, first 2 shown]
	v_and_b32_e32 v24, 0xffff, v65
	v_mul_u32_u24_e32 v25, 0x160, v66
	v_mul_u32_u24_e32 v26, 0x160, v67
	v_mul_u32_u24_e32 v27, 0x160, v68
	s_delay_alu instid0(VALU_DEP_4) | instskip(NEXT) | instid1(VALU_DEP_4)
	v_mul_u32_u24_e32 v24, 0x160, v24
	v_add3_u32 v25, 0, v25, v70
	s_delay_alu instid0(VALU_DEP_4) | instskip(NEXT) | instid1(VALU_DEP_4)
	v_add3_u32 v26, 0, v26, v71
	v_add3_u32 v27, 0, v27, v72
	s_delay_alu instid0(VALU_DEP_4)
	v_add3_u32 v24, 0, v24, v69
	ds_store_b128 v24, v[46:49]
	ds_store_b128 v24, v[28:31] offset:176
	ds_store_b128 v25, v[12:15]
	ds_store_b128 v25, v[32:35] offset:176
	;; [unrolled: 2-line block ×4, first 2 shown]
	s_waitcnt lgkmcnt(0)
	s_barrier
	buffer_gl0_inv
	ds_load_b128 v[12:15], v137
	ds_load_b128 v[16:19], v137 offset:2640
	ds_load_b128 v[24:27], v137 offset:7040
	ds_load_b128 v[32:35], v137 offset:9680
	ds_load_b128 v[28:31], v137 offset:14080
	ds_load_b128 v[36:39], v137 offset:16720
	s_and_saveexec_b32 s1, s0
	s_cbranch_execz .LBB0_17
; %bb.16:
	ds_load_b128 v[8:11], v137 offset:5280
	ds_load_b128 v[20:23], v137 offset:12320
	;; [unrolled: 1-line block ×3, first 2 shown]
.LBB0_17:
	s_or_b32 exec_lo, exec_lo, s1
	v_lshrrev_b16 v46, 1, v56
	v_lshrrev_b32_e32 v51, 20, v45
	v_lshrrev_b32_e32 v44, 20, v44
	s_mov_b32 s4, 0xe8584caa
	s_mov_b32 s5, 0x3febb67a
	v_and_b32_e32 v46, 0x7f, v46
	v_mul_lo_u16 v45, v51, 22
	v_mul_lo_u16 v47, v44, 22
	s_mov_b32 s11, 0xbfebb67a
	s_mov_b32 s10, s4
	v_mul_lo_u16 v46, 0xbb, v46
	v_sub_nc_u16 v45, v40, v45
	v_sub_nc_u16 v43, v43, v47
	s_delay_alu instid0(VALU_DEP_3) | instskip(NEXT) | instid1(VALU_DEP_3)
	v_lshrrev_b16 v87, 11, v46
	v_and_b32_e32 v88, 0xffff, v45
	s_delay_alu instid0(VALU_DEP_3) | instskip(NEXT) | instid1(VALU_DEP_3)
	v_and_b32_e32 v43, 0xffff, v43
	v_mul_lo_u16 v46, v87, 22
	s_delay_alu instid0(VALU_DEP_3) | instskip(NEXT) | instid1(VALU_DEP_2)
	v_lshlrev_b32_e32 v49, 5, v88
	v_sub_nc_u16 v46, v56, v46
	s_delay_alu instid0(VALU_DEP_1)
	v_and_b32_e32 v89, 0xff, v46
	s_clause 0x1
	global_load_b128 v[45:48], v49, s[8:9] offset:176
	global_load_b128 v[57:60], v49, s[8:9] offset:192
	v_lshlrev_b32_e32 v49, 5, v43
	v_lshlrev_b32_e32 v50, 5, v89
	s_clause 0x3
	global_load_b128 v[61:64], v50, s[8:9] offset:176
	global_load_b128 v[65:68], v50, s[8:9] offset:192
	;; [unrolled: 1-line block ×4, first 2 shown]
	s_waitcnt vmcnt(0) lgkmcnt(0)
	s_barrier
	buffer_gl0_inv
	v_mul_f64 v[49:50], v[34:35], v[47:48]
	v_mul_f64 v[77:78], v[38:39], v[59:60]
	;; [unrolled: 1-line block ×12, first 2 shown]
	v_fma_f64 v[32:33], v[32:33], v[45:46], -v[49:50]
	v_fma_f64 v[36:37], v[36:37], v[57:58], -v[77:78]
	v_fma_f64 v[34:35], v[34:35], v[45:46], v[47:48]
	v_fma_f64 v[38:39], v[38:39], v[57:58], v[59:60]
	v_fma_f64 v[24:25], v[24:25], v[61:62], -v[79:80]
	v_fma_f64 v[28:29], v[28:29], v[65:66], -v[81:82]
	v_fma_f64 v[26:27], v[26:27], v[61:62], v[63:64]
	v_fma_f64 v[30:31], v[30:31], v[65:66], v[67:68]
	;; [unrolled: 4-line block ×3, first 2 shown]
	v_add_f64 v[63:64], v[16:17], v[32:33]
	v_add_f64 v[45:46], v[32:33], v[36:37]
	v_add_f64 v[32:33], v[32:33], -v[36:37]
	v_add_f64 v[47:48], v[34:35], v[38:39]
	v_add_f64 v[65:66], v[34:35], -v[38:39]
	v_add_f64 v[34:35], v[18:19], v[34:35]
	v_add_f64 v[71:72], v[12:13], v[24:25]
	;; [unrolled: 1-line block ×9, first 2 shown]
	v_fma_f64 v[16:17], v[45:46], -0.5, v[16:17]
	v_add_f64 v[45:46], v[26:27], -v[30:31]
	v_fma_f64 v[18:19], v[47:48], -0.5, v[18:19]
	v_add_f64 v[47:48], v[24:25], -v[28:29]
	v_add_f64 v[24:25], v[71:72], v[28:29]
	v_fma_f64 v[12:13], v[49:50], -0.5, v[12:13]
	v_add_f64 v[49:50], v[22:23], -v[6:7]
	v_fma_f64 v[14:15], v[57:58], -0.5, v[14:15]
	v_add_f64 v[22:23], v[34:35], v[38:39]
	v_fma_f64 v[57:58], v[59:60], -0.5, v[8:9]
	v_add_f64 v[59:60], v[20:21], -v[4:5]
	v_fma_f64 v[61:62], v[61:62], -0.5, v[10:11]
	v_add_f64 v[20:21], v[63:64], v[36:37]
	v_add_f64 v[8:9], v[67:68], v[4:5]
	;; [unrolled: 1-line block ×4, first 2 shown]
	v_fma_f64 v[28:29], v[65:66], s[4:5], v[16:17]
	v_fma_f64 v[4:5], v[65:66], s[10:11], v[16:17]
	;; [unrolled: 1-line block ×12, first 2 shown]
	v_and_b32_e32 v45, 0xffff, v87
	v_lshlrev_b32_e32 v47, 4, v89
	v_mul_u32_u24_e32 v46, 0x420, v51
	v_lshlrev_b32_e32 v48, 4, v88
	s_delay_alu instid0(VALU_DEP_4) | instskip(NEXT) | instid1(VALU_DEP_2)
	v_mul_u32_u24_e32 v45, 0x420, v45
	v_add3_u32 v46, 0, v46, v48
	s_delay_alu instid0(VALU_DEP_2)
	v_add3_u32 v45, 0, v45, v47
	ds_store_b128 v45, v[24:27]
	ds_store_b128 v45, v[32:35] offset:352
	ds_store_b128 v45, v[36:39] offset:704
	ds_store_b128 v46, v[20:23]
	ds_store_b128 v46, v[28:31] offset:352
	ds_store_b128 v46, v[4:7] offset:704
	s_and_saveexec_b32 s1, s0
	s_cbranch_execz .LBB0_19
; %bb.18:
	v_mul_lo_u16 v20, 0x42, v44
	v_lshlrev_b32_e32 v21, 4, v43
	s_delay_alu instid0(VALU_DEP_2) | instskip(NEXT) | instid1(VALU_DEP_1)
	v_and_b32_e32 v20, 0xffff, v20
	v_lshlrev_b32_e32 v20, 4, v20
	s_delay_alu instid0(VALU_DEP_1)
	v_add3_u32 v20, 0, v21, v20
	ds_store_b128 v20, v[8:11]
	ds_store_b128 v20, v[12:15] offset:352
	ds_store_b128 v20, v[16:19] offset:704
.LBB0_19:
	s_or_b32 exec_lo, exec_lo, s1
	s_waitcnt lgkmcnt(0)
	s_barrier
	buffer_gl0_inv
	ds_load_b128 v[20:23], v137
	ds_load_b128 v[36:39], v137 offset:4224
	ds_load_b128 v[24:27], v137 offset:8448
	;; [unrolled: 1-line block ×4, first 2 shown]
	v_cmp_gt_u32_e64 s0, 0x63, v56
	s_delay_alu instid0(VALU_DEP_1)
	s_and_saveexec_b32 s1, s0
	s_cbranch_execz .LBB0_21
; %bb.20:
	ds_load_b128 v[4:7], v137 offset:2640
	ds_load_b128 v[8:11], v137 offset:6864
	;; [unrolled: 1-line block ×5, first 2 shown]
.LBB0_21:
	s_or_b32 exec_lo, exec_lo, s1
	v_mul_lo_u16 v42, 0xf9, v42
	s_mov_b32 s4, 0x134454ff
	s_mov_b32 s5, 0x3fee6f0e
	;; [unrolled: 1-line block ×4, first 2 shown]
	v_lshrrev_b16 v79, 14, v42
	s_mov_b32 s14, 0x4755a5e
	s_mov_b32 s15, 0x3fe2cf23
	s_mov_b32 s13, 0xbfe2cf23
	s_mov_b32 s12, s14
	v_mul_lo_u16 v42, 0x42, v79
	s_mov_b32 s16, 0x372fe950
	s_mov_b32 s17, 0x3fd3c6ef
	s_delay_alu instid0(VALU_DEP_1) | instskip(NEXT) | instid1(VALU_DEP_1)
	v_sub_nc_u16 v42, v56, v42
	v_and_b32_e32 v80, 0xff, v42
	s_delay_alu instid0(VALU_DEP_1)
	v_lshlrev_b32_e32 v50, 6, v80
	s_clause 0x3
	global_load_b128 v[42:45], v50, s[8:9] offset:880
	global_load_b128 v[46:49], v50, s[8:9] offset:896
	;; [unrolled: 1-line block ×4, first 2 shown]
	s_waitcnt vmcnt(0) lgkmcnt(0)
	s_barrier
	buffer_gl0_inv
	v_mul_f64 v[50:51], v[38:39], v[44:45]
	v_mul_f64 v[65:66], v[26:27], v[48:49]
	v_mul_f64 v[67:68], v[30:31], v[59:60]
	v_mul_f64 v[69:70], v[34:35], v[63:64]
	v_mul_f64 v[48:49], v[24:25], v[48:49]
	v_mul_f64 v[59:60], v[28:29], v[59:60]
	v_mul_f64 v[44:45], v[36:37], v[44:45]
	v_mul_f64 v[63:64], v[32:33], v[63:64]
	v_fma_f64 v[36:37], v[36:37], v[42:43], -v[50:51]
	v_fma_f64 v[24:25], v[24:25], v[46:47], -v[65:66]
	;; [unrolled: 1-line block ×4, first 2 shown]
	v_fma_f64 v[26:27], v[26:27], v[46:47], v[48:49]
	v_fma_f64 v[30:31], v[30:31], v[57:58], v[59:60]
	v_fma_f64 v[38:39], v[38:39], v[42:43], v[44:45]
	v_fma_f64 v[34:35], v[34:35], v[61:62], v[63:64]
	v_add_f64 v[50:51], v[20:21], v[36:37]
	v_add_f64 v[42:43], v[24:25], v[28:29]
	;; [unrolled: 1-line block ×3, first 2 shown]
	v_add_f64 v[63:64], v[36:37], -v[32:33]
	v_add_f64 v[46:47], v[26:27], v[30:31]
	v_add_f64 v[61:62], v[22:23], v[38:39]
	;; [unrolled: 1-line block ×3, first 2 shown]
	v_add_f64 v[57:58], v[38:39], -v[34:35]
	v_add_f64 v[59:60], v[26:27], -v[30:31]
	v_add_f64 v[69:70], v[38:39], -v[26:27]
	v_add_f64 v[38:39], v[26:27], -v[38:39]
	v_add_f64 v[65:66], v[32:33], -v[28:29]
	v_add_f64 v[71:72], v[34:35], -v[30:31]
	v_add_f64 v[67:68], v[28:29], -v[32:33]
	v_add_f64 v[73:74], v[30:31], -v[34:35]
	v_fma_f64 v[42:43], v[42:43], -0.5, v[20:21]
	v_fma_f64 v[20:21], v[44:45], -0.5, v[20:21]
	v_add_f64 v[44:45], v[24:25], -v[28:29]
	v_fma_f64 v[46:47], v[46:47], -0.5, v[22:23]
	v_add_f64 v[26:27], v[61:62], v[26:27]
	v_fma_f64 v[22:23], v[48:49], -0.5, v[22:23]
	v_add_f64 v[48:49], v[36:37], -v[24:25]
	v_add_f64 v[36:37], v[24:25], -v[36:37]
	v_add_f64 v[24:25], v[50:51], v[24:25]
	v_add_f64 v[38:39], v[38:39], v[73:74]
	v_fma_f64 v[50:51], v[57:58], s[4:5], v[42:43]
	v_fma_f64 v[42:43], v[57:58], s[10:11], v[42:43]
	;; [unrolled: 1-line block ×8, first 2 shown]
	v_add_f64 v[24:25], v[24:25], v[28:29]
	v_add_f64 v[26:27], v[26:27], v[30:31]
	;; [unrolled: 1-line block ×5, first 2 shown]
	v_fma_f64 v[28:29], v[59:60], s[14:15], v[50:51]
	v_fma_f64 v[30:31], v[59:60], s[12:13], v[42:43]
	;; [unrolled: 1-line block ×8, first 2 shown]
	v_add_f64 v[20:21], v[24:25], v[32:33]
	v_add_f64 v[22:23], v[26:27], v[34:35]
	v_fma_f64 v[24:25], v[48:49], s[16:17], v[28:29]
	v_fma_f64 v[28:29], v[48:49], s[16:17], v[30:31]
	;; [unrolled: 1-line block ×8, first 2 shown]
	v_and_b32_e32 v42, 0xffff, v79
	v_lshlrev_b32_e32 v43, 4, v80
	s_delay_alu instid0(VALU_DEP_2) | instskip(NEXT) | instid1(VALU_DEP_1)
	v_mul_u32_u24_e32 v42, 0x14a0, v42
	v_add3_u32 v42, 0, v42, v43
	ds_store_b128 v42, v[20:23]
	ds_store_b128 v42, v[24:27] offset:1056
	ds_store_b128 v42, v[32:35] offset:2112
	;; [unrolled: 1-line block ×4, first 2 shown]
	s_and_saveexec_b32 s1, s0
	s_cbranch_execz .LBB0_23
; %bb.22:
	v_mul_u32_u24_e32 v20, 0xf83f, v41
	s_delay_alu instid0(VALU_DEP_1) | instskip(NEXT) | instid1(VALU_DEP_1)
	v_lshrrev_b32_e32 v57, 22, v20
	v_mul_lo_u16 v20, 0x42, v57
	s_delay_alu instid0(VALU_DEP_1) | instskip(NEXT) | instid1(VALU_DEP_1)
	v_sub_nc_u16 v20, v40, v20
	v_and_b32_e32 v58, 0xffff, v20
	s_delay_alu instid0(VALU_DEP_1)
	v_lshlrev_b32_e32 v32, 6, v58
	s_clause 0x3
	global_load_b128 v[20:23], v32, s[8:9] offset:896
	global_load_b128 v[24:27], v32, s[8:9] offset:880
	;; [unrolled: 1-line block ×4, first 2 shown]
	s_waitcnt vmcnt(3)
	v_mul_f64 v[36:37], v[12:13], v[22:23]
	s_waitcnt vmcnt(2)
	v_mul_f64 v[38:39], v[8:9], v[26:27]
	;; [unrolled: 2-line block ×4, first 2 shown]
	v_mul_f64 v[22:23], v[14:15], v[22:23]
	v_mul_f64 v[34:35], v[18:19], v[34:35]
	;; [unrolled: 1-line block ×4, first 2 shown]
	v_fma_f64 v[14:15], v[14:15], v[20:21], v[36:37]
	v_fma_f64 v[10:11], v[10:11], v[24:25], v[38:39]
	;; [unrolled: 1-line block ×4, first 2 shown]
	v_fma_f64 v[12:13], v[12:13], v[20:21], -v[22:23]
	v_fma_f64 v[16:17], v[16:17], v[32:33], -v[34:35]
	;; [unrolled: 1-line block ×4, first 2 shown]
	v_add_f64 v[32:33], v[6:7], v[10:11]
	v_add_f64 v[20:21], v[10:11], v[2:3]
	v_add_f64 v[22:23], v[14:15], v[18:19]
	v_add_f64 v[36:37], v[14:15], -v[18:19]
	v_add_f64 v[24:25], v[12:13], v[16:17]
	v_add_f64 v[34:35], v[4:5], v[8:9]
	;; [unrolled: 1-line block ×3, first 2 shown]
	v_add_f64 v[28:29], v[8:9], -v[0:1]
	v_add_f64 v[30:31], v[12:13], -v[16:17]
	;; [unrolled: 1-line block ×8, first 2 shown]
	v_fma_f64 v[20:21], v[20:21], -0.5, v[6:7]
	v_fma_f64 v[6:7], v[22:23], -0.5, v[6:7]
	v_add_f64 v[22:23], v[10:11], -v[2:3]
	v_fma_f64 v[24:25], v[24:25], -0.5, v[4:5]
	v_add_f64 v[12:13], v[34:35], v[12:13]
	v_fma_f64 v[4:5], v[26:27], -0.5, v[4:5]
	v_add_f64 v[26:27], v[14:15], -v[10:11]
	v_add_f64 v[10:11], v[10:11], -v[14:15]
	v_add_f64 v[14:15], v[32:33], v[14:15]
	v_fma_f64 v[32:33], v[30:31], s[10:11], v[20:21]
	v_fma_f64 v[20:21], v[30:31], s[4:5], v[20:21]
	;; [unrolled: 1-line block ×8, first 2 shown]
	v_add_f64 v[26:27], v[26:27], v[38:39]
	v_add_f64 v[38:39], v[10:11], v[40:41]
	;; [unrolled: 1-line block ×6, first 2 shown]
	v_fma_f64 v[12:13], v[28:29], s[14:15], v[32:33]
	v_fma_f64 v[14:15], v[28:29], s[12:13], v[20:21]
	;; [unrolled: 1-line block ×8, first 2 shown]
	v_add_f64 v[2:3], v[8:9], v[2:3]
	v_add_f64 v[0:1], v[10:11], v[0:1]
	v_fma_f64 v[6:7], v[26:27], s[16:17], v[12:13]
	v_fma_f64 v[10:11], v[26:27], s[16:17], v[14:15]
	;; [unrolled: 1-line block ×8, first 2 shown]
	v_mul_lo_u16 v20, 0x14a, v57
	v_lshlrev_b32_e32 v21, 4, v58
	s_delay_alu instid0(VALU_DEP_2) | instskip(NEXT) | instid1(VALU_DEP_1)
	v_and_b32_e32 v20, 0xffff, v20
	v_lshlrev_b32_e32 v20, 4, v20
	s_delay_alu instid0(VALU_DEP_1)
	v_add3_u32 v20, 0, v21, v20
	ds_store_b128 v20, v[0:3]
	ds_store_b128 v20, v[16:19] offset:1056
	ds_store_b128 v20, v[8:11] offset:2112
	;; [unrolled: 1-line block ×4, first 2 shown]
.LBB0_23:
	s_or_b32 exec_lo, exec_lo, s1
	v_mul_u32_u24_e32 v0, 3, v56
	s_waitcnt lgkmcnt(0)
	s_barrier
	buffer_gl0_inv
	s_add_u32 s1, s8, 0x51d0
	v_lshlrev_b32_e32 v0, 4, v0
	s_addc_u32 s4, s9, 0
	s_mov_b32 s5, exec_lo
	s_delay_alu instid0(VALU_DEP_1) | instskip(NEXT) | instid1(VALU_DEP_1)
	v_add_co_u32 v10, s0, s8, v0
	v_add_co_ci_u32_e64 v11, null, s9, 0, s0
	s_delay_alu instid0(VALU_DEP_2) | instskip(NEXT) | instid1(VALU_DEP_1)
	v_add_co_u32 v0, s0, 0x1000, v10
	v_add_co_ci_u32_e64 v1, s0, 0, v11, s0
	v_add_co_u32 v8, s0, 0x13f0, v10
	s_delay_alu instid0(VALU_DEP_1) | instskip(SKIP_1) | instid1(VALU_DEP_1)
	v_add_co_ci_u32_e64 v9, s0, 0, v11, s0
	v_add_co_u32 v12, s0, 0x3000, v10
	v_add_co_ci_u32_e64 v13, s0, 0, v11, s0
	v_add_co_u32 v20, s0, 0x32e0, v10
	s_delay_alu instid0(VALU_DEP_1)
	v_add_co_ci_u32_e64 v21, s0, 0, v11, s0
	s_clause 0x5
	global_load_b128 v[0:3], v[0:1], off offset:1008
	global_load_b128 v[4:7], v[8:9], off offset:16
	;; [unrolled: 1-line block ×6, first 2 shown]
	ds_load_b128 v[24:27], v137 offset:5280
	ds_load_b128 v[28:31], v137 offset:10560
	;; [unrolled: 1-line block ×6, first 2 shown]
	s_waitcnt vmcnt(3) lgkmcnt(3)
	v_mul_f64 v[57:58], v[34:35], v[10:11]
	v_mul_f64 v[48:49], v[26:27], v[2:3]
	;; [unrolled: 1-line block ×6, first 2 shown]
	s_waitcnt vmcnt(2) lgkmcnt(2)
	v_mul_f64 v[59:60], v[38:39], v[14:15]
	v_mul_f64 v[14:15], v[36:37], v[14:15]
	s_waitcnt vmcnt(1) lgkmcnt(1)
	v_mul_f64 v[61:62], v[42:43], v[18:19]
	v_mul_f64 v[18:19], v[40:41], v[18:19]
	;; [unrolled: 3-line block ×3, first 2 shown]
	v_fma_f64 v[32:33], v[32:33], v[8:9], -v[57:58]
	v_mov_b32_e32 v57, 0
	v_fma_f64 v[24:25], v[24:25], v[0:1], -v[48:49]
	v_fma_f64 v[26:27], v[26:27], v[0:1], v[2:3]
	v_fma_f64 v[28:29], v[28:29], v[4:5], -v[50:51]
	v_fma_f64 v[30:31], v[30:31], v[4:5], v[6:7]
	v_fma_f64 v[8:9], v[34:35], v[8:9], v[10:11]
	v_fma_f64 v[10:11], v[36:37], v[12:13], -v[59:60]
	v_fma_f64 v[12:13], v[38:39], v[12:13], v[14:15]
	v_fma_f64 v[14:15], v[40:41], v[16:17], -v[61:62]
	;; [unrolled: 2-line block ×3, first 2 shown]
	v_fma_f64 v[20:21], v[46:47], v[20:21], v[22:23]
	ds_load_b128 v[0:3], v137
	ds_load_b128 v[4:7], v137 offset:2640
	s_waitcnt lgkmcnt(0)
	s_barrier
	buffer_gl0_inv
	v_add_f64 v[22:23], v[0:1], -v[28:29]
	v_add_f64 v[28:29], v[2:3], -v[30:31]
	;; [unrolled: 1-line block ×8, first 2 shown]
	v_fma_f64 v[36:37], v[0:1], 2.0, -v[22:23]
	v_fma_f64 v[38:39], v[2:3], 2.0, -v[28:29]
	;; [unrolled: 1-line block ×4, first 2 shown]
	v_add_f64 v[0:1], v[22:23], -v[8:9]
	v_fma_f64 v[40:41], v[4:5], 2.0, -v[32:33]
	v_fma_f64 v[42:43], v[6:7], 2.0, -v[34:35]
	;; [unrolled: 1-line block ×4, first 2 shown]
	v_add_f64 v[2:3], v[28:29], v[30:31]
	v_add_f64 v[4:5], v[32:33], -v[16:17]
	v_add_f64 v[6:7], v[34:35], v[14:15]
	v_add_f64 v[8:9], v[36:37], -v[18:19]
	v_add_f64 v[10:11], v[38:39], -v[20:21]
	v_fma_f64 v[16:17], v[22:23], 2.0, -v[0:1]
	v_add_f64 v[12:13], v[40:41], -v[24:25]
	v_add_f64 v[14:15], v[42:43], -v[26:27]
	v_fma_f64 v[18:19], v[28:29], 2.0, -v[2:3]
	v_fma_f64 v[20:21], v[32:33], 2.0, -v[4:5]
	;; [unrolled: 1-line block ×7, first 2 shown]
	ds_store_b128 v137, v[0:3] offset:15840
	ds_store_b128 v137, v[4:7] offset:18480
	;; [unrolled: 1-line block ×6, first 2 shown]
	ds_store_b128 v137, v[24:27]
	ds_store_b128 v137, v[28:31] offset:2640
	s_waitcnt lgkmcnt(0)
	s_barrier
	buffer_gl0_inv
	ds_load_b128 v[4:7], v137
	v_lshlrev_b32_e32 v0, 4, v56
                                        ; implicit-def: $vgpr8_vgpr9
                                        ; implicit-def: $vgpr10_vgpr11
                                        ; implicit-def: $vgpr12_vgpr13
	s_delay_alu instid0(VALU_DEP_1)
	v_sub_nc_u32_e32 v14, 0, v0
                                        ; implicit-def: $vgpr0_vgpr1
	v_cmpx_ne_u32_e32 0, v56
	s_xor_b32 s5, exec_lo, s5
	s_cbranch_execz .LBB0_25
; %bb.24:
	v_lshlrev_b64 v[0:1], 4, v[56:57]
	s_delay_alu instid0(VALU_DEP_1) | instskip(NEXT) | instid1(VALU_DEP_1)
	v_add_co_u32 v0, s0, s1, v0
	v_add_co_ci_u32_e64 v1, s0, s4, v1, s0
	global_load_b128 v[15:18], v[0:1], off
	ds_load_b128 v[0:3], v14 offset:21120
	s_waitcnt lgkmcnt(0)
	v_add_f64 v[8:9], v[4:5], -v[0:1]
	v_add_f64 v[10:11], v[6:7], v[2:3]
	v_add_f64 v[2:3], v[6:7], -v[2:3]
	v_add_f64 v[0:1], v[4:5], v[0:1]
	s_delay_alu instid0(VALU_DEP_4) | instskip(NEXT) | instid1(VALU_DEP_4)
	v_mul_f64 v[6:7], v[8:9], 0.5
	v_mul_f64 v[4:5], v[10:11], 0.5
	s_delay_alu instid0(VALU_DEP_4) | instskip(SKIP_1) | instid1(VALU_DEP_3)
	v_mul_f64 v[2:3], v[2:3], 0.5
	s_waitcnt vmcnt(0)
	v_mul_f64 v[8:9], v[6:7], v[17:18]
	s_delay_alu instid0(VALU_DEP_2) | instskip(SKIP_1) | instid1(VALU_DEP_3)
	v_fma_f64 v[10:11], v[4:5], v[17:18], v[2:3]
	v_fma_f64 v[2:3], v[4:5], v[17:18], -v[2:3]
	v_fma_f64 v[12:13], v[0:1], 0.5, v[8:9]
	v_fma_f64 v[0:1], v[0:1], 0.5, -v[8:9]
	s_delay_alu instid0(VALU_DEP_4) | instskip(NEXT) | instid1(VALU_DEP_4)
	v_fma_f64 v[10:11], -v[15:16], v[6:7], v[10:11]
	v_fma_f64 v[2:3], -v[15:16], v[6:7], v[2:3]
	s_delay_alu instid0(VALU_DEP_4) | instskip(NEXT) | instid1(VALU_DEP_4)
	v_fma_f64 v[8:9], v[4:5], v[15:16], v[12:13]
	v_fma_f64 v[0:1], -v[4:5], v[15:16], v[0:1]
	v_dual_mov_b32 v12, v56 :: v_dual_mov_b32 v13, v57
                                        ; implicit-def: $vgpr4_vgpr5
.LBB0_25:
	s_and_not1_saveexec_b32 s0, s5
	s_cbranch_execz .LBB0_27
; %bb.26:
	s_waitcnt lgkmcnt(0)
	v_add_f64 v[8:9], v[4:5], v[6:7]
	v_add_f64 v[0:1], v[4:5], -v[6:7]
	v_mov_b32_e32 v6, 0
	v_mov_b32_e32 v10, 0
	v_dual_mov_b32 v11, 0 :: v_dual_mov_b32 v12, 0
	s_delay_alu instid0(VALU_DEP_2)
	v_mov_b32_e32 v2, v10
	ds_load_b64 v[4:5], v6 offset:10568
	v_mov_b32_e32 v13, 0
	v_mov_b32_e32 v3, v11
	s_waitcnt lgkmcnt(0)
	v_xor_b32_e32 v5, 0x80000000, v5
	ds_store_b64 v6, v[4:5] offset:10568
.LBB0_27:
	s_or_b32 exec_lo, exec_lo, s0
	s_waitcnt lgkmcnt(0)
	v_lshlrev_b64 v[4:5], 4, v[12:13]
	s_delay_alu instid0(VALU_DEP_1) | instskip(NEXT) | instid1(VALU_DEP_1)
	v_add_co_u32 v12, s0, s1, v4
	v_add_co_ci_u32_e64 v13, s0, s4, v5, s0
	global_load_b128 v[4:7], v[12:13], off offset:2640
	v_add_co_u32 v12, s0, 0x1000, v12
	s_delay_alu instid0(VALU_DEP_1)
	v_add_co_ci_u32_e64 v13, s0, 0, v13, s0
	global_load_b128 v[15:18], v[12:13], off offset:1184
	ds_store_2addr_b64 v137, v[8:9], v[10:11] offset1:1
	ds_store_b128 v14, v[0:3] offset:21120
	ds_load_b128 v[0:3], v137 offset:2640
	ds_load_b128 v[8:11], v14 offset:18480
	s_waitcnt lgkmcnt(0)
	v_add_f64 v[19:20], v[0:1], -v[8:9]
	v_add_f64 v[21:22], v[2:3], v[10:11]
	v_add_f64 v[2:3], v[2:3], -v[10:11]
	v_add_f64 v[0:1], v[0:1], v[8:9]
	s_delay_alu instid0(VALU_DEP_4) | instskip(NEXT) | instid1(VALU_DEP_4)
	v_mul_f64 v[10:11], v[19:20], 0.5
	v_mul_f64 v[19:20], v[21:22], 0.5
	s_delay_alu instid0(VALU_DEP_4) | instskip(SKIP_1) | instid1(VALU_DEP_3)
	v_mul_f64 v[2:3], v[2:3], 0.5
	s_waitcnt vmcnt(1)
	v_mul_f64 v[8:9], v[10:11], v[6:7]
	s_delay_alu instid0(VALU_DEP_2) | instskip(SKIP_1) | instid1(VALU_DEP_3)
	v_fma_f64 v[21:22], v[19:20], v[6:7], v[2:3]
	v_fma_f64 v[2:3], v[19:20], v[6:7], -v[2:3]
	v_fma_f64 v[6:7], v[0:1], 0.5, v[8:9]
	v_fma_f64 v[0:1], v[0:1], 0.5, -v[8:9]
	s_delay_alu instid0(VALU_DEP_4) | instskip(NEXT) | instid1(VALU_DEP_4)
	v_fma_f64 v[8:9], -v[4:5], v[10:11], v[21:22]
	v_fma_f64 v[2:3], -v[4:5], v[10:11], v[2:3]
	s_delay_alu instid0(VALU_DEP_4) | instskip(NEXT) | instid1(VALU_DEP_4)
	v_fma_f64 v[10:11], v[19:20], v[4:5], v[6:7]
	v_fma_f64 v[0:1], -v[19:20], v[4:5], v[0:1]
	global_load_b128 v[4:7], v[12:13], off offset:3824
	v_add_nc_u32_e32 v12, 0x800, v137
	ds_store_2addr_b64 v12, v[10:11], v[8:9] offset0:74 offset1:75
	ds_store_b128 v14, v[0:3] offset:18480
	ds_load_b128 v[0:3], v137 offset:5280
	ds_load_b128 v[8:11], v14 offset:15840
	s_waitcnt lgkmcnt(0)
	v_add_f64 v[12:13], v[0:1], -v[8:9]
	v_add_f64 v[19:20], v[2:3], v[10:11]
	v_add_f64 v[2:3], v[2:3], -v[10:11]
	v_add_f64 v[0:1], v[0:1], v[8:9]
	s_delay_alu instid0(VALU_DEP_4) | instskip(NEXT) | instid1(VALU_DEP_4)
	v_mul_f64 v[10:11], v[12:13], 0.5
	v_mul_f64 v[12:13], v[19:20], 0.5
	s_delay_alu instid0(VALU_DEP_4) | instskip(SKIP_1) | instid1(VALU_DEP_3)
	v_mul_f64 v[2:3], v[2:3], 0.5
	s_waitcnt vmcnt(1)
	v_mul_f64 v[8:9], v[10:11], v[17:18]
	s_delay_alu instid0(VALU_DEP_2) | instskip(SKIP_1) | instid1(VALU_DEP_3)
	v_fma_f64 v[19:20], v[12:13], v[17:18], v[2:3]
	v_fma_f64 v[2:3], v[12:13], v[17:18], -v[2:3]
	v_fma_f64 v[17:18], v[0:1], 0.5, v[8:9]
	v_fma_f64 v[0:1], v[0:1], 0.5, -v[8:9]
	s_delay_alu instid0(VALU_DEP_4) | instskip(NEXT) | instid1(VALU_DEP_4)
	v_fma_f64 v[8:9], -v[15:16], v[10:11], v[19:20]
	v_fma_f64 v[2:3], -v[15:16], v[10:11], v[2:3]
	s_delay_alu instid0(VALU_DEP_4) | instskip(NEXT) | instid1(VALU_DEP_4)
	v_fma_f64 v[10:11], v[12:13], v[15:16], v[17:18]
	v_fma_f64 v[0:1], -v[12:13], v[15:16], v[0:1]
	v_add_nc_u32_e32 v12, 0x1000, v137
	ds_store_2addr_b64 v12, v[10:11], v[8:9] offset0:148 offset1:149
	ds_store_b128 v14, v[0:3] offset:15840
	ds_load_b128 v[0:3], v137 offset:7920
	ds_load_b128 v[8:11], v14 offset:13200
	s_waitcnt lgkmcnt(0)
	v_add_f64 v[12:13], v[0:1], -v[8:9]
	v_add_f64 v[15:16], v[2:3], v[10:11]
	v_add_f64 v[2:3], v[2:3], -v[10:11]
	v_add_f64 v[0:1], v[0:1], v[8:9]
	s_delay_alu instid0(VALU_DEP_4) | instskip(NEXT) | instid1(VALU_DEP_4)
	v_mul_f64 v[10:11], v[12:13], 0.5
	v_mul_f64 v[12:13], v[15:16], 0.5
	s_delay_alu instid0(VALU_DEP_4) | instskip(SKIP_1) | instid1(VALU_DEP_3)
	v_mul_f64 v[2:3], v[2:3], 0.5
	s_waitcnt vmcnt(0)
	v_mul_f64 v[8:9], v[10:11], v[6:7]
	s_delay_alu instid0(VALU_DEP_2) | instskip(SKIP_1) | instid1(VALU_DEP_3)
	v_fma_f64 v[15:16], v[12:13], v[6:7], v[2:3]
	v_fma_f64 v[2:3], v[12:13], v[6:7], -v[2:3]
	v_fma_f64 v[6:7], v[0:1], 0.5, v[8:9]
	v_fma_f64 v[0:1], v[0:1], 0.5, -v[8:9]
	s_delay_alu instid0(VALU_DEP_4) | instskip(NEXT) | instid1(VALU_DEP_4)
	v_fma_f64 v[8:9], -v[4:5], v[10:11], v[15:16]
	v_fma_f64 v[2:3], -v[4:5], v[10:11], v[2:3]
	s_delay_alu instid0(VALU_DEP_4) | instskip(NEXT) | instid1(VALU_DEP_4)
	v_fma_f64 v[6:7], v[12:13], v[4:5], v[6:7]
	v_fma_f64 v[0:1], -v[12:13], v[4:5], v[0:1]
	v_add_nc_u32_e32 v4, 0x1800, v137
	ds_store_2addr_b64 v4, v[6:7], v[8:9] offset0:222 offset1:223
	ds_store_b128 v14, v[0:3] offset:13200
	s_waitcnt lgkmcnt(0)
	s_barrier
	buffer_gl0_inv
	s_and_saveexec_b32 s0, vcc_lo
	s_cbranch_execz .LBB0_30
; %bb.28:
	v_mul_lo_u32 v2, s3, v54
	v_mul_lo_u32 v3, s2, v55
	v_mad_u64_u32 v[0:1], null, s2, v54, 0
	v_dual_mov_b32 v57, 0 :: v_dual_add_nc_u32 v12, 0xa5, v56
	v_lshlrev_b64 v[10:11], 4, v[52:53]
	v_lshl_add_u32 v28, v56, 4, 0
	s_delay_alu instid0(VALU_DEP_3)
	v_dual_mov_b32 v13, v57 :: v_dual_add_nc_u32 v14, 0x14a, v56
	v_add3_u32 v1, v1, v3, v2
	v_lshlrev_b64 v[16:17], 4, v[56:57]
	v_dual_mov_b32 v15, v57 :: v_dual_add_nc_u32 v24, 0x1ef, v56
	ds_load_b128 v[2:5], v28
	ds_load_b128 v[6:9], v28 offset:2640
	v_lshlrev_b64 v[0:1], 4, v[0:1]
	v_lshlrev_b64 v[18:19], 4, v[12:13]
	;; [unrolled: 1-line block ×3, first 2 shown]
	v_dual_mov_b32 v25, v57 :: v_dual_add_nc_u32 v26, 0x294, v56
	v_mov_b32_e32 v27, v57
	v_add_co_u32 v0, vcc_lo, s6, v0
	v_add_co_ci_u32_e32 v1, vcc_lo, s7, v1, vcc_lo
	s_delay_alu instid0(VALU_DEP_4) | instskip(NEXT) | instid1(VALU_DEP_3)
	v_lshlrev_b64 v[24:25], 4, v[24:25]
	v_add_co_u32 v0, vcc_lo, v0, v10
	s_delay_alu instid0(VALU_DEP_3) | instskip(NEXT) | instid1(VALU_DEP_2)
	v_add_co_ci_u32_e32 v1, vcc_lo, v1, v11, vcc_lo
	v_add_co_u32 v22, vcc_lo, v0, v16
	s_delay_alu instid0(VALU_DEP_2)
	v_add_co_ci_u32_e32 v23, vcc_lo, v1, v17, vcc_lo
	ds_load_b128 v[10:13], v28 offset:5280
	ds_load_b128 v[14:17], v28 offset:7920
	v_add_co_u32 v18, vcc_lo, v0, v18
	v_add_co_ci_u32_e32 v19, vcc_lo, v1, v19, vcc_lo
	v_add_co_u32 v20, vcc_lo, v0, v20
	v_add_co_ci_u32_e32 v21, vcc_lo, v1, v21, vcc_lo
	;; [unrolled: 2-line block ×3, first 2 shown]
	s_waitcnt lgkmcnt(3)
	global_store_b128 v[22:23], v[2:5], off
	s_waitcnt lgkmcnt(2)
	global_store_b128 v[18:19], v[6:9], off
	;; [unrolled: 2-line block ×4, first 2 shown]
	v_add_nc_u32_e32 v10, 0x339, v56
	v_lshlrev_b64 v[2:3], 4, v[26:27]
	v_dual_mov_b32 v11, v57 :: v_dual_add_nc_u32 v12, 0x3de, v56
	v_dual_mov_b32 v13, v57 :: v_dual_add_nc_u32 v24, 0x483, v56
	v_mov_b32_e32 v25, v57
	s_delay_alu instid0(VALU_DEP_4)
	v_add_co_u32 v18, vcc_lo, v0, v2
	v_add_co_ci_u32_e32 v19, vcc_lo, v1, v3, vcc_lo
	ds_load_b128 v[2:5], v28 offset:10560
	ds_load_b128 v[6:9], v28 offset:13200
	v_lshlrev_b64 v[20:21], 4, v[10:11]
	v_lshlrev_b64 v[22:23], 4, v[12:13]
	ds_load_b128 v[10:13], v28 offset:15840
	ds_load_b128 v[14:17], v28 offset:18480
	v_lshlrev_b64 v[24:25], 4, v[24:25]
	v_add_co_u32 v20, vcc_lo, v0, v20
	v_add_co_ci_u32_e32 v21, vcc_lo, v1, v21, vcc_lo
	v_add_co_u32 v22, vcc_lo, v0, v22
	v_add_co_ci_u32_e32 v23, vcc_lo, v1, v23, vcc_lo
	;; [unrolled: 2-line block ×3, first 2 shown]
	v_cmp_eq_u32_e32 vcc_lo, 0xa4, v56
	s_waitcnt lgkmcnt(3)
	global_store_b128 v[18:19], v[2:5], off
	s_waitcnt lgkmcnt(2)
	global_store_b128 v[20:21], v[6:9], off
	;; [unrolled: 2-line block ×4, first 2 shown]
	s_and_b32 exec_lo, exec_lo, vcc_lo
	s_cbranch_execz .LBB0_30
; %bb.29:
	ds_load_b128 v[2:5], v57 offset:21120
	v_add_co_u32 v0, vcc_lo, 0x5000, v0
	v_add_co_ci_u32_e32 v1, vcc_lo, 0, v1, vcc_lo
	s_waitcnt lgkmcnt(0)
	global_store_b128 v[0:1], v[2:5], off offset:640
.LBB0_30:
	s_nop 0
	s_sendmsg sendmsg(MSG_DEALLOC_VGPRS)
	s_endpgm
	.section	.rodata,"a",@progbits
	.p2align	6, 0x0
	.amdhsa_kernel fft_rtc_fwd_len1320_factors_11_2_3_5_4_wgs_165_tpt_165_dp_op_CI_CI_unitstride_sbrr_R2C_dirReg
		.amdhsa_group_segment_fixed_size 0
		.amdhsa_private_segment_fixed_size 0
		.amdhsa_kernarg_size 104
		.amdhsa_user_sgpr_count 15
		.amdhsa_user_sgpr_dispatch_ptr 0
		.amdhsa_user_sgpr_queue_ptr 0
		.amdhsa_user_sgpr_kernarg_segment_ptr 1
		.amdhsa_user_sgpr_dispatch_id 0
		.amdhsa_user_sgpr_private_segment_size 0
		.amdhsa_wavefront_size32 1
		.amdhsa_uses_dynamic_stack 0
		.amdhsa_enable_private_segment 0
		.amdhsa_system_sgpr_workgroup_id_x 1
		.amdhsa_system_sgpr_workgroup_id_y 0
		.amdhsa_system_sgpr_workgroup_id_z 0
		.amdhsa_system_sgpr_workgroup_info 0
		.amdhsa_system_vgpr_workitem_id 0
		.amdhsa_next_free_vgpr 166
		.amdhsa_next_free_sgpr 38
		.amdhsa_reserve_vcc 1
		.amdhsa_float_round_mode_32 0
		.amdhsa_float_round_mode_16_64 0
		.amdhsa_float_denorm_mode_32 3
		.amdhsa_float_denorm_mode_16_64 3
		.amdhsa_dx10_clamp 1
		.amdhsa_ieee_mode 1
		.amdhsa_fp16_overflow 0
		.amdhsa_workgroup_processor_mode 1
		.amdhsa_memory_ordered 1
		.amdhsa_forward_progress 0
		.amdhsa_shared_vgpr_count 0
		.amdhsa_exception_fp_ieee_invalid_op 0
		.amdhsa_exception_fp_denorm_src 0
		.amdhsa_exception_fp_ieee_div_zero 0
		.amdhsa_exception_fp_ieee_overflow 0
		.amdhsa_exception_fp_ieee_underflow 0
		.amdhsa_exception_fp_ieee_inexact 0
		.amdhsa_exception_int_div_zero 0
	.end_amdhsa_kernel
	.text
.Lfunc_end0:
	.size	fft_rtc_fwd_len1320_factors_11_2_3_5_4_wgs_165_tpt_165_dp_op_CI_CI_unitstride_sbrr_R2C_dirReg, .Lfunc_end0-fft_rtc_fwd_len1320_factors_11_2_3_5_4_wgs_165_tpt_165_dp_op_CI_CI_unitstride_sbrr_R2C_dirReg
                                        ; -- End function
	.section	.AMDGPU.csdata,"",@progbits
; Kernel info:
; codeLenInByte = 10896
; NumSgprs: 40
; NumVgprs: 166
; ScratchSize: 0
; MemoryBound: 0
; FloatMode: 240
; IeeeMode: 1
; LDSByteSize: 0 bytes/workgroup (compile time only)
; SGPRBlocks: 4
; VGPRBlocks: 20
; NumSGPRsForWavesPerEU: 40
; NumVGPRsForWavesPerEU: 166
; Occupancy: 9
; WaveLimiterHint : 1
; COMPUTE_PGM_RSRC2:SCRATCH_EN: 0
; COMPUTE_PGM_RSRC2:USER_SGPR: 15
; COMPUTE_PGM_RSRC2:TRAP_HANDLER: 0
; COMPUTE_PGM_RSRC2:TGID_X_EN: 1
; COMPUTE_PGM_RSRC2:TGID_Y_EN: 0
; COMPUTE_PGM_RSRC2:TGID_Z_EN: 0
; COMPUTE_PGM_RSRC2:TIDIG_COMP_CNT: 0
	.text
	.p2alignl 7, 3214868480
	.fill 96, 4, 3214868480
	.type	__hip_cuid_339390fe41ab126,@object ; @__hip_cuid_339390fe41ab126
	.section	.bss,"aw",@nobits
	.globl	__hip_cuid_339390fe41ab126
__hip_cuid_339390fe41ab126:
	.byte	0                               ; 0x0
	.size	__hip_cuid_339390fe41ab126, 1

	.ident	"AMD clang version 19.0.0git (https://github.com/RadeonOpenCompute/llvm-project roc-6.4.0 25133 c7fe45cf4b819c5991fe208aaa96edf142730f1d)"
	.section	".note.GNU-stack","",@progbits
	.addrsig
	.addrsig_sym __hip_cuid_339390fe41ab126
	.amdgpu_metadata
---
amdhsa.kernels:
  - .args:
      - .actual_access:  read_only
        .address_space:  global
        .offset:         0
        .size:           8
        .value_kind:     global_buffer
      - .offset:         8
        .size:           8
        .value_kind:     by_value
      - .actual_access:  read_only
        .address_space:  global
        .offset:         16
        .size:           8
        .value_kind:     global_buffer
      - .actual_access:  read_only
        .address_space:  global
        .offset:         24
        .size:           8
        .value_kind:     global_buffer
      - .actual_access:  read_only
        .address_space:  global
        .offset:         32
        .size:           8
        .value_kind:     global_buffer
      - .offset:         40
        .size:           8
        .value_kind:     by_value
      - .actual_access:  read_only
        .address_space:  global
        .offset:         48
        .size:           8
        .value_kind:     global_buffer
      - .actual_access:  read_only
        .address_space:  global
        .offset:         56
        .size:           8
        .value_kind:     global_buffer
      - .offset:         64
        .size:           4
        .value_kind:     by_value
      - .actual_access:  read_only
        .address_space:  global
        .offset:         72
        .size:           8
        .value_kind:     global_buffer
      - .actual_access:  read_only
        .address_space:  global
        .offset:         80
        .size:           8
        .value_kind:     global_buffer
      - .actual_access:  read_only
        .address_space:  global
        .offset:         88
        .size:           8
        .value_kind:     global_buffer
      - .actual_access:  write_only
        .address_space:  global
        .offset:         96
        .size:           8
        .value_kind:     global_buffer
    .group_segment_fixed_size: 0
    .kernarg_segment_align: 8
    .kernarg_segment_size: 104
    .language:       OpenCL C
    .language_version:
      - 2
      - 0
    .max_flat_workgroup_size: 165
    .name:           fft_rtc_fwd_len1320_factors_11_2_3_5_4_wgs_165_tpt_165_dp_op_CI_CI_unitstride_sbrr_R2C_dirReg
    .private_segment_fixed_size: 0
    .sgpr_count:     40
    .sgpr_spill_count: 0
    .symbol:         fft_rtc_fwd_len1320_factors_11_2_3_5_4_wgs_165_tpt_165_dp_op_CI_CI_unitstride_sbrr_R2C_dirReg.kd
    .uniform_work_group_size: 1
    .uses_dynamic_stack: false
    .vgpr_count:     166
    .vgpr_spill_count: 0
    .wavefront_size: 32
    .workgroup_processor_mode: 1
amdhsa.target:   amdgcn-amd-amdhsa--gfx1100
amdhsa.version:
  - 1
  - 2
...

	.end_amdgpu_metadata
